;; amdgpu-corpus repo=ROCm/rocFFT kind=compiled arch=gfx1030 opt=O3
	.text
	.amdgcn_target "amdgcn-amd-amdhsa--gfx1030"
	.amdhsa_code_object_version 6
	.protected	fft_rtc_back_len440_factors_11_8_5_wgs_55_tpt_55_dp_ip_CI_unitstride_sbrr_R2C_dirReg ; -- Begin function fft_rtc_back_len440_factors_11_8_5_wgs_55_tpt_55_dp_ip_CI_unitstride_sbrr_R2C_dirReg
	.globl	fft_rtc_back_len440_factors_11_8_5_wgs_55_tpt_55_dp_ip_CI_unitstride_sbrr_R2C_dirReg
	.p2align	8
	.type	fft_rtc_back_len440_factors_11_8_5_wgs_55_tpt_55_dp_ip_CI_unitstride_sbrr_R2C_dirReg,@function
fft_rtc_back_len440_factors_11_8_5_wgs_55_tpt_55_dp_ip_CI_unitstride_sbrr_R2C_dirReg: ; @fft_rtc_back_len440_factors_11_8_5_wgs_55_tpt_55_dp_ip_CI_unitstride_sbrr_R2C_dirReg
; %bb.0:
	s_clause 0x2
	s_load_dwordx4 s[8:11], s[4:5], 0x0
	s_load_dwordx2 s[2:3], s[4:5], 0x50
	s_load_dwordx2 s[12:13], s[4:5], 0x18
	v_mul_u32_u24_e32 v1, 0x4a8, v0
	v_mov_b32_e32 v3, 0
	v_add_nc_u32_sdwa v5, s6, v1 dst_sel:DWORD dst_unused:UNUSED_PAD src0_sel:DWORD src1_sel:WORD_1
	v_mov_b32_e32 v1, 0
	v_mov_b32_e32 v6, v3
	v_mov_b32_e32 v2, 0
	s_waitcnt lgkmcnt(0)
	v_cmp_lt_u64_e64 s0, s[10:11], 2
	s_and_b32 vcc_lo, exec_lo, s0
	s_cbranch_vccnz .LBB0_8
; %bb.1:
	s_load_dwordx2 s[0:1], s[4:5], 0x10
	v_mov_b32_e32 v1, 0
	s_add_u32 s6, s12, 8
	v_mov_b32_e32 v2, 0
	s_addc_u32 s7, s13, 0
	s_mov_b64 s[16:17], 1
	s_waitcnt lgkmcnt(0)
	s_add_u32 s14, s0, 8
	s_addc_u32 s15, s1, 0
.LBB0_2:                                ; =>This Inner Loop Header: Depth=1
	s_load_dwordx2 s[18:19], s[14:15], 0x0
                                        ; implicit-def: $vgpr7_vgpr8
	s_mov_b32 s0, exec_lo
	s_waitcnt lgkmcnt(0)
	v_or_b32_e32 v4, s19, v6
	v_cmpx_ne_u64_e32 0, v[3:4]
	s_xor_b32 s1, exec_lo, s0
	s_cbranch_execz .LBB0_4
; %bb.3:                                ;   in Loop: Header=BB0_2 Depth=1
	v_cvt_f32_u32_e32 v4, s18
	v_cvt_f32_u32_e32 v7, s19
	s_sub_u32 s0, 0, s18
	s_subb_u32 s20, 0, s19
	v_fmac_f32_e32 v4, 0x4f800000, v7
	v_rcp_f32_e32 v4, v4
	v_mul_f32_e32 v4, 0x5f7ffffc, v4
	v_mul_f32_e32 v7, 0x2f800000, v4
	v_trunc_f32_e32 v7, v7
	v_fmac_f32_e32 v4, 0xcf800000, v7
	v_cvt_u32_f32_e32 v7, v7
	v_cvt_u32_f32_e32 v4, v4
	v_mul_lo_u32 v8, s0, v7
	v_mul_hi_u32 v9, s0, v4
	v_mul_lo_u32 v10, s20, v4
	v_add_nc_u32_e32 v8, v9, v8
	v_mul_lo_u32 v9, s0, v4
	v_add_nc_u32_e32 v8, v8, v10
	v_mul_hi_u32 v10, v4, v9
	v_mul_lo_u32 v11, v4, v8
	v_mul_hi_u32 v12, v4, v8
	v_mul_hi_u32 v13, v7, v9
	v_mul_lo_u32 v9, v7, v9
	v_mul_hi_u32 v14, v7, v8
	v_mul_lo_u32 v8, v7, v8
	v_add_co_u32 v10, vcc_lo, v10, v11
	v_add_co_ci_u32_e32 v11, vcc_lo, 0, v12, vcc_lo
	v_add_co_u32 v9, vcc_lo, v10, v9
	v_add_co_ci_u32_e32 v9, vcc_lo, v11, v13, vcc_lo
	v_add_co_ci_u32_e32 v10, vcc_lo, 0, v14, vcc_lo
	v_add_co_u32 v8, vcc_lo, v9, v8
	v_add_co_ci_u32_e32 v9, vcc_lo, 0, v10, vcc_lo
	v_add_co_u32 v4, vcc_lo, v4, v8
	v_add_co_ci_u32_e32 v7, vcc_lo, v7, v9, vcc_lo
	v_mul_hi_u32 v8, s0, v4
	v_mul_lo_u32 v10, s20, v4
	v_mul_lo_u32 v9, s0, v7
	v_add_nc_u32_e32 v8, v8, v9
	v_mul_lo_u32 v9, s0, v4
	v_add_nc_u32_e32 v8, v8, v10
	v_mul_hi_u32 v10, v4, v9
	v_mul_lo_u32 v11, v4, v8
	v_mul_hi_u32 v12, v4, v8
	v_mul_hi_u32 v13, v7, v9
	v_mul_lo_u32 v9, v7, v9
	v_mul_hi_u32 v14, v7, v8
	v_mul_lo_u32 v8, v7, v8
	v_add_co_u32 v10, vcc_lo, v10, v11
	v_add_co_ci_u32_e32 v11, vcc_lo, 0, v12, vcc_lo
	v_add_co_u32 v9, vcc_lo, v10, v9
	v_add_co_ci_u32_e32 v9, vcc_lo, v11, v13, vcc_lo
	v_add_co_ci_u32_e32 v10, vcc_lo, 0, v14, vcc_lo
	v_add_co_u32 v8, vcc_lo, v9, v8
	v_add_co_ci_u32_e32 v9, vcc_lo, 0, v10, vcc_lo
	v_add_co_u32 v4, vcc_lo, v4, v8
	v_add_co_ci_u32_e32 v11, vcc_lo, v7, v9, vcc_lo
	v_mul_hi_u32 v13, v5, v4
	v_mad_u64_u32 v[9:10], null, v6, v4, 0
	v_mad_u64_u32 v[7:8], null, v5, v11, 0
	;; [unrolled: 1-line block ×3, first 2 shown]
	v_add_co_u32 v4, vcc_lo, v13, v7
	v_add_co_ci_u32_e32 v7, vcc_lo, 0, v8, vcc_lo
	v_add_co_u32 v4, vcc_lo, v4, v9
	v_add_co_ci_u32_e32 v4, vcc_lo, v7, v10, vcc_lo
	v_add_co_ci_u32_e32 v7, vcc_lo, 0, v12, vcc_lo
	v_add_co_u32 v4, vcc_lo, v4, v11
	v_add_co_ci_u32_e32 v9, vcc_lo, 0, v7, vcc_lo
	v_mul_lo_u32 v10, s19, v4
	v_mad_u64_u32 v[7:8], null, s18, v4, 0
	v_mul_lo_u32 v11, s18, v9
	v_sub_co_u32 v7, vcc_lo, v5, v7
	v_add3_u32 v8, v8, v11, v10
	v_sub_nc_u32_e32 v10, v6, v8
	v_subrev_co_ci_u32_e64 v10, s0, s19, v10, vcc_lo
	v_add_co_u32 v11, s0, v4, 2
	v_add_co_ci_u32_e64 v12, s0, 0, v9, s0
	v_sub_co_u32 v13, s0, v7, s18
	v_sub_co_ci_u32_e32 v8, vcc_lo, v6, v8, vcc_lo
	v_subrev_co_ci_u32_e64 v10, s0, 0, v10, s0
	v_cmp_le_u32_e32 vcc_lo, s18, v13
	v_cmp_eq_u32_e64 s0, s19, v8
	v_cndmask_b32_e64 v13, 0, -1, vcc_lo
	v_cmp_le_u32_e32 vcc_lo, s19, v10
	v_cndmask_b32_e64 v14, 0, -1, vcc_lo
	v_cmp_le_u32_e32 vcc_lo, s18, v7
	;; [unrolled: 2-line block ×3, first 2 shown]
	v_cndmask_b32_e64 v15, 0, -1, vcc_lo
	v_cmp_eq_u32_e32 vcc_lo, s19, v10
	v_cndmask_b32_e64 v7, v15, v7, s0
	v_cndmask_b32_e32 v10, v14, v13, vcc_lo
	v_add_co_u32 v13, vcc_lo, v4, 1
	v_add_co_ci_u32_e32 v14, vcc_lo, 0, v9, vcc_lo
	v_cmp_ne_u32_e32 vcc_lo, 0, v10
	v_cndmask_b32_e32 v8, v14, v12, vcc_lo
	v_cndmask_b32_e32 v10, v13, v11, vcc_lo
	v_cmp_ne_u32_e32 vcc_lo, 0, v7
	v_cndmask_b32_e32 v8, v9, v8, vcc_lo
	v_cndmask_b32_e32 v7, v4, v10, vcc_lo
.LBB0_4:                                ;   in Loop: Header=BB0_2 Depth=1
	s_andn2_saveexec_b32 s0, s1
	s_cbranch_execz .LBB0_6
; %bb.5:                                ;   in Loop: Header=BB0_2 Depth=1
	v_cvt_f32_u32_e32 v4, s18
	s_sub_i32 s1, 0, s18
	v_rcp_iflag_f32_e32 v4, v4
	v_mul_f32_e32 v4, 0x4f7ffffe, v4
	v_cvt_u32_f32_e32 v4, v4
	v_mul_lo_u32 v7, s1, v4
	v_mul_hi_u32 v7, v4, v7
	v_add_nc_u32_e32 v4, v4, v7
	v_mul_hi_u32 v4, v5, v4
	v_mul_lo_u32 v7, v4, s18
	v_add_nc_u32_e32 v8, 1, v4
	v_sub_nc_u32_e32 v7, v5, v7
	v_subrev_nc_u32_e32 v9, s18, v7
	v_cmp_le_u32_e32 vcc_lo, s18, v7
	v_cndmask_b32_e32 v7, v7, v9, vcc_lo
	v_cndmask_b32_e32 v4, v4, v8, vcc_lo
	v_cmp_le_u32_e32 vcc_lo, s18, v7
	v_add_nc_u32_e32 v8, 1, v4
	v_cndmask_b32_e32 v7, v4, v8, vcc_lo
	v_mov_b32_e32 v8, v3
.LBB0_6:                                ;   in Loop: Header=BB0_2 Depth=1
	s_or_b32 exec_lo, exec_lo, s0
	s_load_dwordx2 s[0:1], s[6:7], 0x0
	v_mul_lo_u32 v4, v8, s18
	v_mul_lo_u32 v11, v7, s19
	v_mad_u64_u32 v[9:10], null, v7, s18, 0
	s_add_u32 s16, s16, 1
	s_addc_u32 s17, s17, 0
	s_add_u32 s6, s6, 8
	s_addc_u32 s7, s7, 0
	;; [unrolled: 2-line block ×3, first 2 shown]
	v_add3_u32 v4, v10, v11, v4
	v_sub_co_u32 v5, vcc_lo, v5, v9
	v_sub_co_ci_u32_e32 v4, vcc_lo, v6, v4, vcc_lo
	s_waitcnt lgkmcnt(0)
	v_mul_lo_u32 v6, s1, v5
	v_mul_lo_u32 v4, s0, v4
	v_mad_u64_u32 v[1:2], null, s0, v5, v[1:2]
	v_cmp_ge_u64_e64 s0, s[16:17], s[10:11]
	s_and_b32 vcc_lo, exec_lo, s0
	v_add3_u32 v2, v6, v2, v4
	s_cbranch_vccnz .LBB0_9
; %bb.7:                                ;   in Loop: Header=BB0_2 Depth=1
	v_mov_b32_e32 v5, v7
	v_mov_b32_e32 v6, v8
	s_branch .LBB0_2
.LBB0_8:
	v_mov_b32_e32 v8, v6
	v_mov_b32_e32 v7, v5
.LBB0_9:
	s_lshl_b64 s[0:1], s[10:11], 3
	v_mul_hi_u32 v3, 0x4a7904b, v0
	s_add_u32 s0, s12, s0
	s_addc_u32 s1, s13, s1
	s_load_dwordx2 s[0:1], s[0:1], 0x0
	s_load_dwordx2 s[4:5], s[4:5], 0x20
	v_mul_u32_u24_e32 v3, 55, v3
	v_sub_nc_u32_e32 v52, v0, v3
	v_lshl_add_u32 v136, v52, 4, 0
	s_waitcnt lgkmcnt(0)
	v_mul_lo_u32 v4, s0, v8
	v_mul_lo_u32 v5, s1, v7
	v_mad_u64_u32 v[1:2], null, s0, v7, v[1:2]
	v_cmp_gt_u64_e32 vcc_lo, s[4:5], v[7:8]
	v_add3_u32 v2, v5, v2, v4
	v_lshlrev_b64 v[54:55], 4, v[1:2]
	s_and_saveexec_b32 s1, vcc_lo
	s_cbranch_execz .LBB0_11
; %bb.10:
	v_mov_b32_e32 v53, 0
	v_add_co_u32 v2, s0, s2, v54
	v_add_co_ci_u32_e64 v3, s0, s3, v55, s0
	v_lshlrev_b64 v[0:1], 4, v[52:53]
	v_add_co_u32 v8, s0, v2, v0
	v_add_co_ci_u32_e64 v9, s0, v3, v1, s0
	s_clause 0x1
	global_load_dwordx4 v[0:3], v[8:9], off
	global_load_dwordx4 v[4:7], v[8:9], off offset:880
	v_add_co_u32 v16, s0, 0x800, v8
	v_add_co_ci_u32_e64 v17, s0, 0, v9, s0
	v_add_co_u32 v24, s0, 0x1000, v8
	v_add_co_ci_u32_e64 v25, s0, 0, v9, s0
	;; [unrolled: 2-line block ×3, first 2 shown]
	s_clause 0x5
	global_load_dwordx4 v[8:11], v[8:9], off offset:1760
	global_load_dwordx4 v[12:15], v[16:17], off offset:592
	;; [unrolled: 1-line block ×6, first 2 shown]
	s_waitcnt vmcnt(7)
	ds_write_b128 v136, v[0:3]
	s_waitcnt vmcnt(6)
	ds_write_b128 v136, v[4:7] offset:880
	s_waitcnt vmcnt(5)
	ds_write_b128 v136, v[8:11] offset:1760
	;; [unrolled: 2-line block ×7, first 2 shown]
.LBB0_11:
	s_or_b32 exec_lo, exec_lo, s1
	s_waitcnt lgkmcnt(0)
	s_barrier
	buffer_gl0_inv
	ds_read_b128 v[8:11], v136 offset:6400
	ds_read_b128 v[20:23], v136 offset:640
	;; [unrolled: 1-line block ×3, first 2 shown]
	ds_read_b128 v[28:31], v136
	ds_read_b128 v[32:35], v136 offset:1280
	ds_read_b128 v[36:39], v136 offset:1920
	s_mov_b32 s4, 0xd9c712b6
	s_mov_b32 s14, 0x8eee2c13
	;; [unrolled: 1-line block ×4, first 2 shown]
	ds_read_b128 v[16:19], v136 offset:5120
	s_mov_b32 s6, 0x7f775887
	s_mov_b32 s10, 0xbb3a28a1
	;; [unrolled: 1-line block ×4, first 2 shown]
	ds_read_b128 v[24:27], v136 offset:4480
	ds_read_b128 v[44:47], v136 offset:2560
	s_mov_b32 s12, 0x9bcd5057
	s_mov_b32 s20, 0x43842ef
	;; [unrolled: 1-line block ×4, first 2 shown]
	s_waitcnt lgkmcnt(7)
	v_add_f64 v[84:85], v[22:23], -v[10:11]
	v_add_f64 v[76:77], v[22:23], v[10:11]
	v_add_f64 v[78:79], v[20:21], v[8:9]
	v_add_f64 v[90:91], v[20:21], -v[8:9]
	s_waitcnt lgkmcnt(4)
	v_add_f64 v[58:59], v[34:35], -v[14:15]
	v_add_f64 v[56:57], v[34:35], v[14:15]
	v_add_f64 v[62:63], v[32:33], v[12:13]
	v_add_f64 v[68:69], v[32:33], -v[12:13]
	s_mov_b32 s17, 0x3fd207e7
	s_waitcnt lgkmcnt(2)
	v_add_f64 v[64:65], v[38:39], -v[18:19]
	v_add_f64 v[60:61], v[38:39], v[18:19]
	s_mov_b32 s16, 0xfd768dbf
	s_mov_b32 s21, 0xbfefac9e
	;; [unrolled: 1-line block ×3, first 2 shown]
	v_add_f64 v[74:75], v[36:37], v[16:17]
	v_add_f64 v[100:101], v[36:37], -v[16:17]
	s_waitcnt lgkmcnt(0)
	v_add_f64 v[80:81], v[46:47], -v[26:27]
	ds_read_b128 v[40:43], v136 offset:3200
	ds_read_b128 v[48:51], v136 offset:3840
	s_mov_b32 s27, 0x3fefac9e
	s_mov_b32 s26, s20
	v_add_f64 v[66:67], v[46:47], v[26:27]
	v_add_f64 v[96:97], v[44:45], v[24:25]
	v_mul_f64 v[88:89], v[84:85], s[14:15]
	v_mul_f64 v[92:93], v[76:77], s[4:5]
	;; [unrolled: 1-line block ×8, first 2 shown]
	s_mov_b32 s30, 0xf8bb580b
	v_mul_f64 v[86:87], v[64:65], s[16:17]
	v_mul_f64 v[94:95], v[60:61], s[12:13]
	s_mov_b32 s31, 0xbfe14ced
	s_mov_b32 s29, 0x3fe14ced
	;; [unrolled: 1-line block ×4, first 2 shown]
	s_waitcnt lgkmcnt(0)
	v_add_f64 v[102:103], v[42:43], -v[50:51]
	v_mul_f64 v[106:107], v[80:81], s[26:27]
	s_mov_b32 s22, s14
	v_add_f64 v[112:113], v[44:45], -v[24:25]
	v_add_f64 v[98:99], v[40:41], v[48:49]
	v_mul_f64 v[110:111], v[66:67], s[18:19]
	v_mul_f64 v[120:121], v[64:65], s[22:23]
	v_fma_f64 v[0:1], v[78:79], s[4:5], -v[88:89]
	v_fma_f64 v[2:3], v[90:91], s[14:15], v[92:93]
	v_mul_f64 v[130:131], v[60:61], s[4:5]
	v_fma_f64 v[118:119], v[90:91], s[20:21], v[132:133]
	v_fma_f64 v[4:5], v[62:63], s[6:7], -v[70:71]
	v_fma_f64 v[6:7], v[68:69], s[10:11], v[72:73]
	s_mov_b32 s24, 0x8764f0ba
	v_fma_f64 v[137:138], v[68:69], s[16:17], v[124:125]
	s_mov_b32 s25, 0x3feaeb8c
	v_fma_f64 v[116:117], v[74:75], s[12:13], -v[86:87]
	v_add_f64 v[82:83], v[42:43], v[50:51]
	v_mul_f64 v[128:129], v[80:81], s[30:31]
	v_add_f64 v[114:115], v[40:41], -v[48:49]
	s_mov_b32 s1, exec_lo
	v_mul_f64 v[104:105], v[102:103], s[28:29]
	v_fma_f64 v[134:135], v[96:97], s[18:19], -v[106:107]
	s_barrier
	buffer_gl0_inv
	v_add_f64 v[0:1], v[28:29], v[0:1]
	v_add_f64 v[2:3], v[30:31], v[2:3]
	;; [unrolled: 1-line block ×3, first 2 shown]
	v_mul_f64 v[108:109], v[82:83], s[24:25]
	v_fma_f64 v[139:140], v[98:99], s[24:25], -v[104:105]
	v_add_f64 v[0:1], v[4:5], v[0:1]
	v_fma_f64 v[4:5], v[100:101], s[16:17], v[94:95]
	v_add_f64 v[2:3], v[6:7], v[2:3]
	v_fma_f64 v[6:7], v[78:79], s[18:19], -v[126:127]
	v_add_f64 v[118:119], v[137:138], v[118:119]
	v_fma_f64 v[137:138], v[100:101], s[22:23], v[130:131]
	v_fma_f64 v[141:142], v[114:115], s[28:29], v[108:109]
	v_add_f64 v[0:1], v[116:117], v[0:1]
	v_fma_f64 v[116:117], v[112:113], s[26:27], v[110:111]
	v_add_f64 v[2:3], v[4:5], v[2:3]
	v_fma_f64 v[4:5], v[62:63], s[12:13], -v[122:123]
	v_add_f64 v[6:7], v[28:29], v[6:7]
	v_add_f64 v[137:138], v[137:138], v[118:119]
	v_mul_f64 v[118:119], v[82:83], s[6:7]
	v_add_f64 v[0:1], v[134:135], v[0:1]
	v_mul_f64 v[134:135], v[66:67], s[24:25]
	;; [unrolled: 2-line block ×3, first 2 shown]
	v_add_f64 v[4:5], v[4:5], v[6:7]
	v_fma_f64 v[6:7], v[74:75], s[4:5], -v[120:121]
	v_add_f64 v[0:1], v[139:140], v[0:1]
	v_fma_f64 v[139:140], v[96:97], s[24:25], -v[128:129]
	v_add_f64 v[2:3], v[141:142], v[2:3]
	v_add_f64 v[4:5], v[6:7], v[4:5]
	v_fma_f64 v[6:7], v[112:113], s[30:31], v[134:135]
	v_add_f64 v[4:5], v[139:140], v[4:5]
	v_fma_f64 v[139:140], v[98:99], s[6:7], -v[116:117]
	v_add_f64 v[6:7], v[6:7], v[137:138]
	v_fma_f64 v[137:138], v[114:115], s[10:11], v[118:119]
	v_add_f64 v[4:5], v[139:140], v[4:5]
	v_add_f64 v[6:7], v[137:138], v[6:7]
	v_cmpx_gt_u32_e32 40, v52
	s_cbranch_execz .LBB0_13
; %bb.12:
	v_add_f64 v[22:23], v[30:31], v[22:23]
	v_add_f64 v[20:21], v[28:29], v[20:21]
	v_mul_f64 v[137:138], v[90:91], s[10:11]
	v_mul_f64 v[139:140], v[84:85], s[10:11]
	v_add_f64 v[22:23], v[22:23], v[34:35]
	v_add_f64 v[20:21], v[20:21], v[32:33]
	v_mul_f64 v[32:33], v[90:91], s[20:21]
	v_mul_f64 v[34:35], v[78:79], s[18:19]
	v_add_f64 v[22:23], v[22:23], v[38:39]
	v_add_f64 v[20:21], v[20:21], v[36:37]
	v_mul_f64 v[38:39], v[90:91], s[14:15]
	v_add_f64 v[32:33], v[132:133], -v[32:33]
	v_mul_f64 v[132:133], v[90:91], s[30:31]
	v_mul_f64 v[36:37], v[78:79], s[4:5]
	v_add_f64 v[34:35], v[34:35], v[126:127]
	v_mul_f64 v[126:127], v[84:85], s[30:31]
	v_add_f64 v[22:23], v[22:23], v[46:47]
	v_add_f64 v[20:21], v[20:21], v[44:45]
	v_mul_f64 v[44:45], v[68:69], s[16:17]
	v_mul_f64 v[46:47], v[100:101], s[16:17]
	s_mov_b32 s17, 0xbfd207e7
	v_add_f64 v[38:39], v[92:93], -v[38:39]
	v_mul_f64 v[90:91], v[90:91], s[16:17]
	v_mul_f64 v[84:85], v[84:85], s[16:17]
	v_fma_f64 v[92:93], v[76:77], s[6:7], v[137:138]
	v_fma_f64 v[137:138], v[76:77], s[6:7], -v[137:138]
	v_add_f64 v[36:37], v[36:37], v[88:89]
	v_fma_f64 v[88:89], v[78:79], s[6:7], -v[139:140]
	v_fma_f64 v[139:140], v[78:79], s[6:7], v[139:140]
	v_add_f64 v[32:33], v[30:31], v[32:33]
	v_add_f64 v[34:35], v[28:29], v[34:35]
	;; [unrolled: 1-line block ×4, first 2 shown]
	v_fma_f64 v[40:41], v[76:77], s[24:25], v[132:133]
	v_fma_f64 v[42:43], v[76:77], s[24:25], -v[132:133]
	v_add_f64 v[44:45], v[124:125], -v[44:45]
	v_add_f64 v[38:39], v[30:31], v[38:39]
	v_fma_f64 v[132:133], v[76:77], s[12:13], v[90:91]
	v_fma_f64 v[76:77], v[76:77], s[12:13], -v[90:91]
	v_fma_f64 v[90:91], v[78:79], s[24:25], -v[126:127]
	v_fma_f64 v[126:127], v[78:79], s[24:25], v[126:127]
	v_fma_f64 v[141:142], v[78:79], s[12:13], -v[84:85]
	v_fma_f64 v[78:79], v[78:79], s[12:13], v[84:85]
	v_add_f64 v[84:85], v[30:31], v[92:93]
	v_add_f64 v[92:93], v[30:31], v[137:138]
	;; [unrolled: 1-line block ×5, first 2 shown]
	v_add_f64 v[46:47], v[94:95], -v[46:47]
	v_mul_f64 v[94:95], v[114:115], s[28:29]
	v_add_f64 v[22:23], v[22:23], v[50:51]
	v_add_f64 v[20:21], v[20:21], v[48:49]
	;; [unrolled: 1-line block ×4, first 2 shown]
	v_mul_f64 v[48:49], v[68:69], s[26:27]
	v_mul_f64 v[50:51], v[58:59], s[26:27]
	v_add_f64 v[132:133], v[30:31], v[132:133]
	v_add_f64 v[30:31], v[30:31], v[76:77]
	v_mul_f64 v[76:77], v[112:113], s[30:31]
	v_add_f64 v[90:91], v[28:29], v[90:91]
	v_add_f64 v[126:127], v[28:29], v[126:127]
	;; [unrolled: 1-line block ×4, first 2 shown]
	v_mul_f64 v[78:79], v[100:101], s[22:23]
	v_add_f64 v[32:33], v[44:45], v[32:33]
	v_mul_f64 v[44:45], v[64:65], s[30:31]
	v_add_f64 v[22:23], v[22:23], v[26:27]
	v_add_f64 v[20:21], v[20:21], v[24:25]
	v_mul_f64 v[26:27], v[102:103], s[20:21]
	v_fma_f64 v[124:125], v[62:63], s[18:19], -v[50:51]
	v_fma_f64 v[50:51], v[62:63], s[18:19], v[50:51]
	v_add_f64 v[76:77], v[134:135], -v[76:77]
	v_mul_f64 v[134:135], v[96:97], s[24:25]
	v_add_f64 v[78:79], v[130:131], -v[78:79]
	v_fma_f64 v[130:131], v[56:57], s[18:19], v[48:49]
	v_fma_f64 v[48:49], v[56:57], s[18:19], -v[48:49]
	v_add_f64 v[18:19], v[22:23], v[18:19]
	v_add_f64 v[16:17], v[20:21], v[16:17]
	v_fma_f64 v[141:142], v[98:99], s[18:19], v[26:27]
	v_add_f64 v[88:89], v[124:125], v[88:89]
	v_add_f64 v[50:51], v[50:51], v[137:138]
	v_add_f64 v[128:129], v[134:135], v[128:129]
	v_mul_f64 v[134:135], v[68:69], s[28:29]
	v_add_f64 v[32:33], v[78:79], v[32:33]
	v_add_f64 v[84:85], v[130:131], v[84:85]
	;; [unrolled: 1-line block ×3, first 2 shown]
	v_mul_f64 v[92:93], v[100:101], s[30:31]
	v_mul_f64 v[130:131], v[58:59], s[28:29]
	;; [unrolled: 1-line block ×3, first 2 shown]
	v_add_f64 v[16:17], v[16:17], v[12:13]
	v_fma_f64 v[124:125], v[56:57], s[24:25], v[134:135]
	v_fma_f64 v[134:135], v[56:57], s[24:25], -v[134:135]
	v_add_f64 v[32:33], v[76:77], v[32:33]
	v_fma_f64 v[137:138], v[62:63], s[24:25], -v[130:131]
	v_fma_f64 v[130:131], v[62:63], s[24:25], v[130:131]
	v_add_f64 v[8:9], v[16:17], v[8:9]
	v_add_f64 v[124:125], v[124:125], v[132:133]
	v_fma_f64 v[132:133], v[60:61], s[24:25], v[92:93]
	v_add_f64 v[30:31], v[134:135], v[30:31]
	v_fma_f64 v[134:135], v[74:75], s[24:25], -v[44:45]
	v_fma_f64 v[92:93], v[60:61], s[24:25], -v[92:93]
	v_add_f64 v[137:138], v[137:138], v[139:140]
	v_mul_f64 v[139:140], v[100:101], s[10:11]
	v_add_f64 v[28:29], v[130:131], v[28:29]
	v_mul_f64 v[130:131], v[64:65], s[10:11]
	v_mul_f64 v[100:101], v[100:101], s[20:21]
	;; [unrolled: 1-line block ×3, first 2 shown]
	v_add_f64 v[84:85], v[132:133], v[84:85]
	v_mul_f64 v[132:133], v[112:113], s[16:17]
	v_add_f64 v[88:89], v[134:135], v[88:89]
	v_add_f64 v[48:49], v[92:93], v[48:49]
	v_fma_f64 v[134:135], v[60:61], s[6:7], v[139:140]
	v_fma_f64 v[139:140], v[60:61], s[6:7], -v[139:140]
	v_fma_f64 v[92:93], v[74:75], s[6:7], -v[130:131]
	v_fma_f64 v[130:131], v[74:75], s[6:7], v[130:131]
	v_fma_f64 v[78:79], v[66:67], s[12:13], v[132:133]
	v_add_f64 v[124:125], v[134:135], v[124:125]
	v_add_f64 v[30:31], v[139:140], v[30:31]
	;; [unrolled: 1-line block ×3, first 2 shown]
	v_mul_f64 v[137:138], v[62:63], s[12:13]
	v_mul_f64 v[139:140], v[112:113], s[22:23]
	;; [unrolled: 1-line block ×3, first 2 shown]
	v_add_f64 v[28:29], v[130:131], v[28:29]
	v_mul_f64 v[130:131], v[80:81], s[22:23]
	v_mul_f64 v[68:69], v[68:69], s[14:15]
	v_add_f64 v[78:79], v[78:79], v[84:85]
	v_mul_f64 v[84:85], v[62:63], s[6:7]
	v_add_f64 v[122:123], v[137:138], v[122:123]
	v_fma_f64 v[137:138], v[66:67], s[4:5], v[139:140]
	v_add_f64 v[72:73], v[72:73], -v[134:135]
	v_fma_f64 v[139:140], v[66:67], s[4:5], -v[139:140]
	v_fma_f64 v[134:135], v[96:97], s[4:5], -v[130:131]
	;; [unrolled: 1-line block ×3, first 2 shown]
	v_fma_f64 v[56:57], v[56:57], s[4:5], v[68:69]
	v_fma_f64 v[130:131], v[96:97], s[4:5], v[130:131]
	v_mul_f64 v[68:69], v[114:115], s[22:23]
	v_add_f64 v[70:71], v[84:85], v[70:71]
	v_mul_f64 v[84:85], v[74:75], s[4:5]
	v_add_f64 v[34:35], v[122:123], v[34:35]
	v_add_f64 v[124:125], v[137:138], v[124:125]
	v_mul_f64 v[137:138], v[74:75], s[12:13]
	v_add_f64 v[30:31], v[139:140], v[30:31]
	v_add_f64 v[92:93], v[134:135], v[92:93]
	v_mul_f64 v[134:135], v[96:97], s[18:19]
	v_mul_f64 v[139:140], v[112:113], s[26:27]
	v_add_f64 v[38:39], v[72:73], v[38:39]
	v_mul_f64 v[112:113], v[112:113], s[10:11]
	v_add_f64 v[24:25], v[24:25], v[42:43]
	;; [unrolled: 2-line block ×3, first 2 shown]
	v_add_f64 v[130:131], v[130:131], v[28:29]
	v_mul_f64 v[28:29], v[114:115], s[20:21]
	v_add_f64 v[36:37], v[70:71], v[36:37]
	v_add_f64 v[84:85], v[84:85], v[120:121]
	v_fma_f64 v[120:121], v[62:63], s[4:5], v[58:59]
	v_fma_f64 v[58:59], v[62:63], s[4:5], -v[58:59]
	v_fma_f64 v[70:71], v[60:61], s[18:19], v[100:101]
	v_fma_f64 v[60:61], v[60:61], s[18:19], -v[100:101]
	v_mul_f64 v[62:63], v[80:81], s[16:17]
	v_fma_f64 v[80:81], v[98:99], s[18:19], -v[26:27]
	v_fma_f64 v[26:27], v[74:75], s[24:25], v[44:45]
	v_fma_f64 v[44:45], v[66:67], s[12:13], -v[132:133]
	v_add_f64 v[86:87], v[137:138], v[86:87]
	v_mul_f64 v[72:73], v[98:99], s[6:7]
	v_mul_f64 v[137:138], v[114:115], s[10:11]
	;; [unrolled: 1-line block ×3, first 2 shown]
	v_add_f64 v[110:111], v[110:111], -v[139:140]
	v_add_f64 v[38:39], v[46:47], v[38:39]
	v_add_f64 v[46:47], v[134:135], v[106:107]
	v_mul_f64 v[106:107], v[114:115], s[16:17]
	v_fma_f64 v[114:115], v[66:67], s[6:7], -v[112:113]
	v_fma_f64 v[56:57], v[82:83], s[4:5], v[68:69]
	v_add_f64 v[16:17], v[141:142], v[130:131]
	v_fma_f64 v[100:101], v[82:83], s[18:19], v[28:29]
	v_fma_f64 v[28:29], v[82:83], s[18:19], -v[28:29]
	v_add_f64 v[34:35], v[84:85], v[34:35]
	v_add_f64 v[120:121], v[120:121], v[126:127]
	v_fma_f64 v[126:127], v[74:75], s[18:19], v[64:65]
	v_fma_f64 v[64:65], v[74:75], s[18:19], -v[64:65]
	v_add_f64 v[58:59], v[58:59], v[90:91]
	v_mul_f64 v[74:75], v[102:103], s[22:23]
	v_mul_f64 v[102:103], v[102:103], s[16:17]
	v_add_f64 v[24:25], v[60:61], v[24:25]
	v_fma_f64 v[60:61], v[96:97], s[6:7], v[42:43]
	v_add_f64 v[22:23], v[86:87], v[36:37]
	v_fma_f64 v[90:91], v[96:97], s[12:13], -v[62:63]
	v_fma_f64 v[62:63], v[96:97], s[12:13], v[62:63]
	v_add_f64 v[26:27], v[26:27], v[50:51]
	v_add_f64 v[44:45], v[44:45], v[48:49]
	v_fma_f64 v[48:49], v[66:67], s[6:7], v[112:113]
	v_add_f64 v[40:41], v[70:71], v[40:41]
	v_fma_f64 v[42:43], v[96:97], s[6:7], -v[42:43]
	v_add_f64 v[84:85], v[18:19], v[14:15]
	v_add_f64 v[66:67], v[72:73], v[116:117]
	v_fma_f64 v[72:73], v[82:83], s[12:13], -v[106:107]
	v_fma_f64 v[36:37], v[82:83], s[4:5], -v[68:69]
	v_add_f64 v[68:69], v[108:109], -v[94:95]
	v_add_f64 v[38:39], v[110:111], v[38:39]
	v_add_f64 v[70:71], v[122:123], v[104:105]
	;; [unrolled: 1-line block ×3, first 2 shown]
	v_fma_f64 v[82:83], v[82:83], s[12:13], v[106:107]
	v_add_f64 v[50:51], v[64:65], v[58:59]
	v_add_f64 v[64:65], v[118:119], -v[137:138]
	v_fma_f64 v[76:77], v[98:99], s[12:13], v[102:103]
	v_add_f64 v[24:25], v[114:115], v[24:25]
	v_fma_f64 v[58:59], v[98:99], s[4:5], v[74:75]
	v_add_f64 v[46:47], v[46:47], v[22:23]
	v_fma_f64 v[74:75], v[98:99], s[4:5], -v[74:75]
	v_add_f64 v[86:87], v[90:91], v[88:89]
	v_add_f64 v[62:63], v[62:63], v[26:27]
	;; [unrolled: 1-line block ×5, first 2 shown]
	v_fma_f64 v[48:49], v[98:99], s[12:13], -v[102:103]
	v_add_f64 v[10:11], v[84:85], v[10:11]
	v_add_f64 v[12:13], v[80:81], v[92:93]
	;; [unrolled: 1-line block ×3, first 2 shown]
	v_mad_u32_u24 v44, 0xa0, v52, v136
	v_add_f64 v[30:31], v[68:69], v[38:39]
	v_add_f64 v[38:39], v[56:57], v[78:79]
	;; [unrolled: 1-line block ×14, first 2 shown]
	ds_write_b128 v44, v[8:11]
	ds_write_b128 v44, v[32:35] offset:16
	ds_write_b128 v44, v[28:31] offset:32
	ds_write_b128 v44, v[24:27] offset:48
	ds_write_b128 v44, v[20:23] offset:64
	ds_write_b128 v44, v[16:19] offset:80
	ds_write_b128 v44, v[12:15] offset:96
	ds_write_b128 v44, v[36:39] offset:112
	ds_write_b128 v44, v[4:7] offset:128
	ds_write_b128 v44, v[0:3] offset:144
	ds_write_b128 v44, v[40:43] offset:160
.LBB0_13:
	s_or_b32 exec_lo, exec_lo, s1
	v_and_b32_e32 v8, 0xff, v52
	s_waitcnt lgkmcnt(0)
	s_barrier
	buffer_gl0_inv
	s_mov_b32 s0, 0x667f3bcd
	v_mul_lo_u16 v8, 0x75, v8
	s_mov_b32 s1, 0xbfe6a09e
	s_mov_b32 s5, 0x3fe6a09e
	;; [unrolled: 1-line block ×3, first 2 shown]
	v_lshrrev_b16 v8, 8, v8
	v_sub_nc_u16 v9, v52, v8
	v_lshrrev_b16 v9, 1, v9
	v_and_b32_e32 v9, 0x7f, v9
	v_add_nc_u16 v8, v9, v8
	v_mov_b32_e32 v9, 7
	v_lshrrev_b16 v53, 3, v8
	v_mul_lo_u16 v8, v53, 11
	v_sub_nc_u16 v86, v52, v8
	v_mul_u32_u24_sdwa v8, v86, v9 dst_sel:DWORD dst_unused:UNUSED_PAD src0_sel:BYTE_0 src1_sel:DWORD
	v_lshlrev_b32_e32 v32, 4, v8
	s_clause 0x6
	global_load_dwordx4 v[8:11], v32, s[8:9]
	global_load_dwordx4 v[12:15], v32, s[8:9] offset:16
	global_load_dwordx4 v[16:19], v32, s[8:9] offset:48
	;; [unrolled: 1-line block ×6, first 2 shown]
	ds_read_b128 v[36:39], v136 offset:880
	ds_read_b128 v[40:43], v136 offset:1760
	;; [unrolled: 1-line block ×7, first 2 shown]
	ds_read_b128 v[68:71], v136
	s_waitcnt vmcnt(0) lgkmcnt(0)
	s_barrier
	buffer_gl0_inv
	v_mul_f64 v[72:73], v[38:39], v[10:11]
	v_mul_f64 v[10:11], v[36:37], v[10:11]
	;; [unrolled: 1-line block ×14, first 2 shown]
	v_fma_f64 v[36:37], v[36:37], v[8:9], v[72:73]
	v_fma_f64 v[8:9], v[38:39], v[8:9], -v[10:11]
	v_fma_f64 v[10:11], v[40:41], v[12:13], v[74:75]
	v_fma_f64 v[12:13], v[42:43], v[12:13], -v[14:15]
	v_fma_f64 v[14:15], v[44:45], v[16:17], v[76:77]
	v_fma_f64 v[16:17], v[46:47], v[16:17], -v[18:19]
	v_fma_f64 v[18:19], v[48:49], v[20:21], v[78:79]
	v_fma_f64 v[20:21], v[50:51], v[20:21], -v[22:23]
	v_fma_f64 v[22:23], v[56:57], v[24:25], v[80:81]
	v_fma_f64 v[24:25], v[58:59], v[24:25], -v[26:27]
	v_fma_f64 v[26:27], v[60:61], v[28:29], v[82:83]
	v_fma_f64 v[28:29], v[62:63], v[28:29], -v[30:31]
	v_fma_f64 v[30:31], v[64:65], v[32:33], v[84:85]
	v_fma_f64 v[32:33], v[66:67], v[32:33], -v[34:35]
	v_add_f64 v[14:15], v[68:69], -v[14:15]
	v_add_f64 v[16:17], v[70:71], -v[16:17]
	;; [unrolled: 1-line block ×8, first 2 shown]
	v_fma_f64 v[34:35], v[68:69], 2.0, -v[14:15]
	v_fma_f64 v[38:39], v[70:71], 2.0, -v[16:17]
	;; [unrolled: 1-line block ×6, first 2 shown]
	v_add_f64 v[40:41], v[14:15], v[20:21]
	v_add_f64 v[42:43], v[16:17], -v[18:19]
	v_fma_f64 v[18:19], v[26:27], 2.0, -v[30:31]
	v_fma_f64 v[20:21], v[28:29], 2.0, -v[32:33]
	v_add_f64 v[26:27], v[22:23], v[32:33]
	v_add_f64 v[28:29], v[24:25], -v[30:31]
	v_add_f64 v[30:31], v[34:35], -v[10:11]
	;; [unrolled: 1-line block ×3, first 2 shown]
	v_fma_f64 v[44:45], v[14:15], 2.0, -v[40:41]
	v_fma_f64 v[46:47], v[16:17], 2.0, -v[42:43]
	v_add_f64 v[10:11], v[36:37], -v[18:19]
	v_add_f64 v[12:13], v[8:9], -v[20:21]
	v_fma_f64 v[48:49], v[22:23], 2.0, -v[26:27]
	v_fma_f64 v[24:25], v[24:25], 2.0, -v[28:29]
	v_fma_f64 v[16:17], v[26:27], s[4:5], v[40:41]
	v_fma_f64 v[18:19], v[28:29], s[4:5], v[42:43]
	v_fma_f64 v[34:35], v[34:35], 2.0, -v[30:31]
	v_fma_f64 v[38:39], v[38:39], 2.0, -v[32:33]
	;; [unrolled: 1-line block ×4, first 2 shown]
	v_fma_f64 v[36:37], v[48:49], s[0:1], v[44:45]
	v_fma_f64 v[50:51], v[24:25], s[0:1], v[46:47]
	v_add_f64 v[12:13], v[30:31], v[12:13]
	v_add_f64 v[14:15], v[32:33], -v[10:11]
	v_fma_f64 v[16:17], v[28:29], s[4:5], v[16:17]
	v_fma_f64 v[18:19], v[26:27], s[0:1], v[18:19]
	v_add_f64 v[20:21], v[34:35], -v[20:21]
	v_add_f64 v[22:23], v[38:39], -v[8:9]
	v_fma_f64 v[8:9], v[24:25], s[4:5], v[36:37]
	v_fma_f64 v[10:11], v[48:49], s[0:1], v[50:51]
	v_fma_f64 v[24:25], v[30:31], 2.0, -v[12:13]
	v_fma_f64 v[26:27], v[32:33], 2.0, -v[14:15]
	;; [unrolled: 1-line block ×4, first 2 shown]
	v_mov_b32_e32 v48, 0x580
	v_mov_b32_e32 v49, 4
	v_cmp_gt_u32_e64 s0, 33, v52
	v_mul_u32_u24_sdwa v40, v53, v48 dst_sel:DWORD dst_unused:UNUSED_PAD src0_sel:WORD_0 src1_sel:DWORD
	v_lshlrev_b32_sdwa v41, v49, v86 dst_sel:DWORD dst_unused:UNUSED_PAD src0_sel:DWORD src1_sel:BYTE_0
	v_add3_u32 v40, 0, v40, v41
	v_fma_f64 v[32:33], v[34:35], 2.0, -v[20:21]
	v_fma_f64 v[34:35], v[38:39], 2.0, -v[22:23]
	;; [unrolled: 1-line block ×4, first 2 shown]
	ds_write_b128 v40, v[12:15] offset:1056
	ds_write_b128 v40, v[16:19] offset:1232
	;; [unrolled: 1-line block ×6, first 2 shown]
	ds_write_b128 v40, v[32:35]
	ds_write_b128 v40, v[36:39] offset:176
	s_waitcnt lgkmcnt(0)
	s_barrier
	buffer_gl0_inv
	ds_read_b128 v[20:23], v136
	ds_read_b128 v[36:39], v136 offset:1408
	ds_read_b128 v[24:27], v136 offset:2816
	;; [unrolled: 1-line block ×4, first 2 shown]
	s_and_saveexec_b32 s1, s0
	s_cbranch_execz .LBB0_15
; %bb.14:
	ds_read_b128 v[8:11], v136 offset:880
	ds_read_b128 v[12:15], v136 offset:2288
	;; [unrolled: 1-line block ×5, first 2 shown]
.LBB0_15:
	s_or_b32 exec_lo, exec_lo, s1
	v_lshlrev_b32_e32 v40, 2, v52
	v_mov_b32_e32 v41, 0
	s_mov_b32 s4, 0x134454ff
	s_mov_b32 s5, 0xbfee6f0e
	;; [unrolled: 1-line block ×4, first 2 shown]
	v_lshlrev_b64 v[42:43], 4, v[40:41]
	s_mov_b32 s12, 0x4755a5e
	s_mov_b32 s13, 0xbfe2cf23
	;; [unrolled: 1-line block ×5, first 2 shown]
	v_add_co_u32 v50, s1, s8, v42
	v_add_co_ci_u32_e64 v51, s1, s9, v43, s1
	s_mov_b32 s15, 0x3fd3c6ef
	s_clause 0x3
	global_load_dwordx4 v[42:45], v[50:51], off offset:1232
	global_load_dwordx4 v[46:49], v[50:51], off offset:1248
	;; [unrolled: 1-line block ×4, first 2 shown]
	s_waitcnt vmcnt(0) lgkmcnt(0)
	s_barrier
	buffer_gl0_inv
	v_mul_f64 v[50:51], v[38:39], v[44:45]
	v_mul_f64 v[64:65], v[26:27], v[48:49]
	;; [unrolled: 1-line block ×8, first 2 shown]
	v_fma_f64 v[36:37], v[36:37], v[42:43], v[50:51]
	v_fma_f64 v[24:25], v[24:25], v[46:47], v[64:65]
	;; [unrolled: 1-line block ×4, first 2 shown]
	v_fma_f64 v[26:27], v[26:27], v[46:47], -v[48:49]
	v_fma_f64 v[30:31], v[30:31], v[56:57], -v[58:59]
	v_fma_f64 v[38:39], v[38:39], v[42:43], -v[44:45]
	v_fma_f64 v[34:35], v[34:35], v[60:61], -v[62:63]
	v_add_f64 v[50:51], v[20:21], v[36:37]
	v_add_f64 v[42:43], v[24:25], v[28:29]
	;; [unrolled: 1-line block ×3, first 2 shown]
	v_add_f64 v[62:63], v[36:37], -v[32:33]
	v_add_f64 v[46:47], v[26:27], v[30:31]
	v_add_f64 v[60:61], v[22:23], v[38:39]
	;; [unrolled: 1-line block ×3, first 2 shown]
	v_add_f64 v[56:57], v[38:39], -v[34:35]
	v_add_f64 v[58:59], v[26:27], -v[30:31]
	;; [unrolled: 1-line block ×8, first 2 shown]
	v_fma_f64 v[42:43], v[42:43], -0.5, v[20:21]
	v_fma_f64 v[20:21], v[44:45], -0.5, v[20:21]
	v_add_f64 v[44:45], v[24:25], -v[28:29]
	v_fma_f64 v[46:47], v[46:47], -0.5, v[22:23]
	v_add_f64 v[26:27], v[60:61], v[26:27]
	v_fma_f64 v[22:23], v[48:49], -0.5, v[22:23]
	v_add_f64 v[48:49], v[36:37], -v[24:25]
	v_add_f64 v[36:37], v[24:25], -v[36:37]
	v_add_f64 v[24:25], v[50:51], v[24:25]
	v_add_f64 v[38:39], v[38:39], v[72:73]
	v_fma_f64 v[50:51], v[56:57], s[4:5], v[42:43]
	v_fma_f64 v[42:43], v[56:57], s[6:7], v[42:43]
	;; [unrolled: 1-line block ×8, first 2 shown]
	v_add_f64 v[24:25], v[24:25], v[28:29]
	v_add_f64 v[26:27], v[26:27], v[30:31]
	;; [unrolled: 1-line block ×5, first 2 shown]
	v_fma_f64 v[28:29], v[58:59], s[12:13], v[50:51]
	v_fma_f64 v[30:31], v[58:59], s[10:11], v[42:43]
	;; [unrolled: 1-line block ×8, first 2 shown]
	v_add_f64 v[20:21], v[24:25], v[32:33]
	v_add_f64 v[22:23], v[26:27], v[34:35]
	v_fma_f64 v[24:25], v[48:49], s[14:15], v[28:29]
	v_fma_f64 v[28:29], v[48:49], s[14:15], v[30:31]
	;; [unrolled: 1-line block ×8, first 2 shown]
	ds_write_b128 v136, v[20:23]
	ds_write_b128 v136, v[24:27] offset:1408
	ds_write_b128 v136, v[32:35] offset:2816
	;; [unrolled: 1-line block ×4, first 2 shown]
	s_and_saveexec_b32 s1, s0
	s_cbranch_execz .LBB0_17
; %bb.16:
	v_cndmask_b32_e64 v20, 0xffffffdf, 55, s0
	v_add_lshl_u32 v40, v52, v20, 2
	v_lshlrev_b64 v[20:21], 4, v[40:41]
	v_add_co_u32 v32, s0, s8, v20
	v_add_co_ci_u32_e64 v33, s0, s9, v21, s0
	s_clause 0x3
	global_load_dwordx4 v[20:23], v[32:33], off offset:1248
	global_load_dwordx4 v[24:27], v[32:33], off offset:1232
	;; [unrolled: 1-line block ×4, first 2 shown]
	s_waitcnt vmcnt(3)
	v_mul_f64 v[36:37], v[16:17], v[22:23]
	s_waitcnt vmcnt(2)
	v_mul_f64 v[38:39], v[12:13], v[26:27]
	;; [unrolled: 2-line block ×4, first 2 shown]
	v_mul_f64 v[22:23], v[18:19], v[22:23]
	v_mul_f64 v[34:35], v[6:7], v[34:35]
	;; [unrolled: 1-line block ×4, first 2 shown]
	v_fma_f64 v[18:19], v[18:19], v[20:21], -v[36:37]
	v_fma_f64 v[14:15], v[14:15], v[24:25], -v[38:39]
	;; [unrolled: 1-line block ×4, first 2 shown]
	v_fma_f64 v[16:17], v[16:17], v[20:21], v[22:23]
	v_fma_f64 v[4:5], v[4:5], v[32:33], v[34:35]
	;; [unrolled: 1-line block ×4, first 2 shown]
	v_add_f64 v[32:33], v[10:11], v[14:15]
	v_add_f64 v[20:21], v[14:15], v[2:3]
	;; [unrolled: 1-line block ×3, first 2 shown]
	v_add_f64 v[36:37], v[14:15], -v[2:3]
	v_add_f64 v[24:25], v[16:17], v[4:5]
	v_add_f64 v[34:35], v[8:9], v[12:13]
	;; [unrolled: 1-line block ×3, first 2 shown]
	v_add_f64 v[28:29], v[16:17], -v[4:5]
	v_add_f64 v[30:31], v[12:13], -v[0:1]
	;; [unrolled: 1-line block ×8, first 2 shown]
	v_fma_f64 v[20:21], v[20:21], -0.5, v[10:11]
	v_fma_f64 v[10:11], v[22:23], -0.5, v[10:11]
	v_add_f64 v[22:23], v[18:19], -v[6:7]
	v_fma_f64 v[24:25], v[24:25], -0.5, v[8:9]
	v_add_f64 v[16:17], v[34:35], v[16:17]
	v_fma_f64 v[8:9], v[26:27], -0.5, v[8:9]
	v_add_f64 v[26:27], v[18:19], -v[14:15]
	v_add_f64 v[14:15], v[14:15], -v[18:19]
	v_add_f64 v[18:19], v[32:33], v[18:19]
	v_add_f64 v[12:13], v[12:13], v[46:47]
	v_fma_f64 v[32:33], v[28:29], s[6:7], v[20:21]
	v_fma_f64 v[20:21], v[28:29], s[4:5], v[20:21]
	v_fma_f64 v[34:35], v[30:31], s[4:5], v[10:11]
	v_fma_f64 v[10:11], v[30:31], s[6:7], v[10:11]
	v_fma_f64 v[48:49], v[36:37], s[4:5], v[24:25]
	v_fma_f64 v[50:51], v[22:23], s[6:7], v[8:9]
	v_fma_f64 v[8:9], v[22:23], s[4:5], v[8:9]
	v_fma_f64 v[24:25], v[36:37], s[6:7], v[24:25]
	v_add_f64 v[6:7], v[18:19], v[6:7]
	v_add_f64 v[4:5], v[16:17], v[4:5]
	;; [unrolled: 1-line block ×5, first 2 shown]
	v_fma_f64 v[14:15], v[30:31], s[12:13], v[32:33]
	v_fma_f64 v[16:17], v[30:31], s[10:11], v[20:21]
	v_fma_f64 v[18:19], v[28:29], s[12:13], v[34:35]
	v_fma_f64 v[20:21], v[28:29], s[10:11], v[10:11]
	v_fma_f64 v[28:29], v[22:23], s[12:13], v[48:49]
	v_fma_f64 v[30:31], v[36:37], s[12:13], v[50:51]
	v_fma_f64 v[32:33], v[36:37], s[10:11], v[8:9]
	v_fma_f64 v[22:23], v[22:23], s[10:11], v[24:25]
	v_add_f64 v[2:3], v[6:7], v[2:3]
	v_add_f64 v[0:1], v[4:5], v[0:1]
	v_fma_f64 v[6:7], v[26:27], s[14:15], v[14:15]
	v_fma_f64 v[10:11], v[26:27], s[14:15], v[16:17]
	;; [unrolled: 1-line block ×8, first 2 shown]
	ds_write_b128 v136, v[0:3] offset:880
	ds_write_b128 v136, v[16:19] offset:2288
	;; [unrolled: 1-line block ×5, first 2 shown]
.LBB0_17:
	s_or_b32 exec_lo, exec_lo, s1
	s_waitcnt lgkmcnt(0)
	s_barrier
	buffer_gl0_inv
	ds_read_b128 v[4:7], v136
	v_lshlrev_b32_e32 v0, 4, v52
	s_add_u32 s1, s8, 0x1ad0
	s_addc_u32 s4, s9, 0
	s_mov_b32 s5, exec_lo
                                        ; implicit-def: $vgpr8_vgpr9
                                        ; implicit-def: $vgpr10_vgpr11
                                        ; implicit-def: $vgpr12_vgpr13
	v_sub_nc_u32_e32 v14, 0, v0
                                        ; implicit-def: $vgpr0_vgpr1
	v_cmpx_ne_u32_e32 0, v52
	s_xor_b32 s5, exec_lo, s5
	s_cbranch_execz .LBB0_19
; %bb.18:
	v_mov_b32_e32 v53, 0
	v_lshlrev_b64 v[0:1], 4, v[52:53]
	v_add_co_u32 v0, s0, s1, v0
	v_add_co_ci_u32_e64 v1, s0, s4, v1, s0
	global_load_dwordx4 v[15:18], v[0:1], off
	ds_read_b128 v[0:3], v14 offset:7040
	s_waitcnt lgkmcnt(0)
	v_add_f64 v[8:9], v[4:5], -v[0:1]
	v_add_f64 v[10:11], v[6:7], v[2:3]
	v_add_f64 v[2:3], v[6:7], -v[2:3]
	v_add_f64 v[0:1], v[4:5], v[0:1]
	v_mul_f64 v[6:7], v[8:9], 0.5
	v_mul_f64 v[4:5], v[10:11], 0.5
	;; [unrolled: 1-line block ×3, first 2 shown]
	s_waitcnt vmcnt(0)
	v_mul_f64 v[8:9], v[6:7], v[17:18]
	v_fma_f64 v[10:11], v[4:5], v[17:18], v[2:3]
	v_fma_f64 v[2:3], v[4:5], v[17:18], -v[2:3]
	v_fma_f64 v[12:13], v[0:1], 0.5, v[8:9]
	v_fma_f64 v[0:1], v[0:1], 0.5, -v[8:9]
	v_fma_f64 v[10:11], -v[15:16], v[6:7], v[10:11]
	v_fma_f64 v[2:3], -v[15:16], v[6:7], v[2:3]
	v_fma_f64 v[8:9], v[4:5], v[15:16], v[12:13]
	v_mov_b32_e32 v12, v52
	v_fma_f64 v[0:1], -v[4:5], v[15:16], v[0:1]
	v_mov_b32_e32 v13, v53
                                        ; implicit-def: $vgpr4_vgpr5
.LBB0_19:
	s_andn2_saveexec_b32 s0, s5
	s_cbranch_execz .LBB0_21
; %bb.20:
	v_mov_b32_e32 v17, 0
	s_waitcnt lgkmcnt(0)
	v_add_f64 v[8:9], v[4:5], v[6:7]
	v_add_f64 v[0:1], v[4:5], -v[6:7]
	v_mov_b32_e32 v10, 0
	v_mov_b32_e32 v11, 0
	ds_read_b64 v[15:16], v17 offset:3528
	v_mov_b32_e32 v12, 0
	v_mov_b32_e32 v2, v10
	;; [unrolled: 1-line block ×4, first 2 shown]
	s_waitcnt lgkmcnt(0)
	v_xor_b32_e32 v16, 0x80000000, v16
	ds_write_b64 v17, v[15:16] offset:3528
.LBB0_21:
	s_or_b32 exec_lo, exec_lo, s0
	s_waitcnt lgkmcnt(0)
	v_lshlrev_b64 v[4:5], 4, v[12:13]
	v_add_co_u32 v12, s0, s1, v4
	v_add_co_ci_u32_e64 v13, s0, s4, v5, s0
	s_clause 0x1
	global_load_dwordx4 v[15:18], v[12:13], off offset:880
	global_load_dwordx4 v[19:22], v[12:13], off offset:1760
	ds_write2_b64 v136, v[8:9], v[10:11] offset1:1
	ds_write_b128 v14, v[0:3] offset:7040
	v_add_co_u32 v10, s0, 0x800, v12
	ds_read_b128 v[0:3], v136 offset:880
	ds_read_b128 v[6:9], v14 offset:6160
	v_add_co_ci_u32_e64 v11, s0, 0, v13, s0
	global_load_dwordx4 v[10:13], v[10:11], off offset:592
	s_waitcnt lgkmcnt(0)
	v_add_f64 v[23:24], v[0:1], -v[6:7]
	v_add_f64 v[25:26], v[2:3], v[8:9]
	v_add_f64 v[2:3], v[2:3], -v[8:9]
	v_add_f64 v[0:1], v[0:1], v[6:7]
	v_mul_f64 v[8:9], v[23:24], 0.5
	v_mul_f64 v[23:24], v[25:26], 0.5
	;; [unrolled: 1-line block ×3, first 2 shown]
	s_waitcnt vmcnt(2)
	v_mul_f64 v[6:7], v[8:9], v[17:18]
	v_fma_f64 v[25:26], v[23:24], v[17:18], v[2:3]
	v_fma_f64 v[2:3], v[23:24], v[17:18], -v[2:3]
	v_fma_f64 v[17:18], v[0:1], 0.5, v[6:7]
	v_fma_f64 v[0:1], v[0:1], 0.5, -v[6:7]
	v_fma_f64 v[6:7], -v[15:16], v[8:9], v[25:26]
	v_fma_f64 v[2:3], -v[15:16], v[8:9], v[2:3]
	v_fma_f64 v[8:9], v[23:24], v[15:16], v[17:18]
	v_fma_f64 v[0:1], -v[23:24], v[15:16], v[0:1]
	ds_write2_b64 v136, v[8:9], v[6:7] offset0:110 offset1:111
	ds_write_b128 v14, v[0:3] offset:6160
	ds_read_b128 v[0:3], v136 offset:1760
	ds_read_b128 v[6:9], v14 offset:5280
	s_waitcnt lgkmcnt(0)
	v_add_f64 v[15:16], v[0:1], -v[6:7]
	v_add_f64 v[17:18], v[2:3], v[8:9]
	v_add_f64 v[2:3], v[2:3], -v[8:9]
	v_add_f64 v[0:1], v[0:1], v[6:7]
	v_mul_f64 v[8:9], v[15:16], 0.5
	v_mul_f64 v[15:16], v[17:18], 0.5
	;; [unrolled: 1-line block ×3, first 2 shown]
	s_waitcnt vmcnt(1)
	v_mul_f64 v[6:7], v[8:9], v[21:22]
	v_fma_f64 v[17:18], v[15:16], v[21:22], v[2:3]
	v_fma_f64 v[2:3], v[15:16], v[21:22], -v[2:3]
	v_fma_f64 v[21:22], v[0:1], 0.5, v[6:7]
	v_fma_f64 v[0:1], v[0:1], 0.5, -v[6:7]
	v_fma_f64 v[6:7], -v[19:20], v[8:9], v[17:18]
	v_fma_f64 v[2:3], -v[19:20], v[8:9], v[2:3]
	v_fma_f64 v[8:9], v[15:16], v[19:20], v[21:22]
	v_fma_f64 v[0:1], -v[15:16], v[19:20], v[0:1]
	ds_write2_b64 v136, v[8:9], v[6:7] offset0:220 offset1:221
	ds_write_b128 v14, v[0:3] offset:5280
	ds_read_b128 v[0:3], v136 offset:2640
	ds_read_b128 v[6:9], v14 offset:4400
	s_waitcnt lgkmcnt(0)
	v_add_f64 v[15:16], v[0:1], -v[6:7]
	v_add_f64 v[17:18], v[2:3], v[8:9]
	v_add_f64 v[2:3], v[2:3], -v[8:9]
	v_add_f64 v[0:1], v[0:1], v[6:7]
	v_mul_f64 v[8:9], v[15:16], 0.5
	v_mul_f64 v[15:16], v[17:18], 0.5
	;; [unrolled: 1-line block ×3, first 2 shown]
	s_waitcnt vmcnt(0)
	v_mul_f64 v[6:7], v[8:9], v[12:13]
	v_fma_f64 v[17:18], v[15:16], v[12:13], v[2:3]
	v_fma_f64 v[2:3], v[15:16], v[12:13], -v[2:3]
	v_fma_f64 v[12:13], v[0:1], 0.5, v[6:7]
	v_fma_f64 v[0:1], v[0:1], 0.5, -v[6:7]
	v_fma_f64 v[6:7], -v[10:11], v[8:9], v[17:18]
	v_fma_f64 v[2:3], -v[10:11], v[8:9], v[2:3]
	v_fma_f64 v[8:9], v[15:16], v[10:11], v[12:13]
	v_fma_f64 v[0:1], -v[15:16], v[10:11], v[0:1]
	v_add_nc_u32_e32 v10, 0x800, v136
	ds_write2_b64 v10, v[8:9], v[6:7] offset0:74 offset1:75
	ds_write_b128 v14, v[0:3] offset:4400
	s_waitcnt lgkmcnt(0)
	s_barrier
	buffer_gl0_inv
	s_and_saveexec_b32 s0, vcc_lo
	s_cbranch_execz .LBB0_24
; %bb.22:
	ds_read_b128 v[6:9], v136
	ds_read_b128 v[10:13], v136 offset:880
	ds_read_b128 v[14:17], v136 offset:1760
	;; [unrolled: 1-line block ×3, first 2 shown]
	v_add_co_u32 v0, vcc_lo, s2, v54
	v_add_co_ci_u32_e32 v1, vcc_lo, s3, v55, vcc_lo
	v_add_co_u32 v34, vcc_lo, v0, v4
	v_add_co_ci_u32_e32 v35, vcc_lo, v1, v5, vcc_lo
	ds_read_b128 v[2:5], v136 offset:3520
	ds_read_b128 v[22:25], v136 offset:4400
	;; [unrolled: 1-line block ×4, first 2 shown]
	v_add_co_u32 v36, vcc_lo, 0x800, v34
	v_add_co_ci_u32_e32 v37, vcc_lo, 0, v35, vcc_lo
	s_waitcnt lgkmcnt(7)
	global_store_dwordx4 v[34:35], v[6:9], off
	s_waitcnt lgkmcnt(6)
	global_store_dwordx4 v[34:35], v[10:13], off offset:880
	s_waitcnt lgkmcnt(5)
	global_store_dwordx4 v[34:35], v[14:17], off offset:1760
	;; [unrolled: 2-line block ×3, first 2 shown]
	v_add_co_u32 v6, vcc_lo, 0x1000, v34
	v_add_co_ci_u32_e32 v7, vcc_lo, 0, v35, vcc_lo
	v_add_co_u32 v8, vcc_lo, 0x1800, v34
	v_add_co_ci_u32_e32 v9, vcc_lo, 0, v35, vcc_lo
	v_cmp_eq_u32_e32 vcc_lo, 54, v52
	s_waitcnt lgkmcnt(3)
	global_store_dwordx4 v[36:37], v[2:5], off offset:1472
	s_waitcnt lgkmcnt(2)
	global_store_dwordx4 v[6:7], v[22:25], off offset:304
	;; [unrolled: 2-line block ×4, first 2 shown]
	s_and_b32 exec_lo, exec_lo, vcc_lo
	s_cbranch_execz .LBB0_24
; %bb.23:
	v_mov_b32_e32 v2, 0
	v_add_co_u32 v0, vcc_lo, 0x1800, v0
	v_add_co_ci_u32_e32 v1, vcc_lo, 0, v1, vcc_lo
	ds_read_b128 v[2:5], v2 offset:7040
	s_waitcnt lgkmcnt(0)
	global_store_dwordx4 v[0:1], v[2:5], off offset:896
.LBB0_24:
	s_endpgm
	.section	.rodata,"a",@progbits
	.p2align	6, 0x0
	.amdhsa_kernel fft_rtc_back_len440_factors_11_8_5_wgs_55_tpt_55_dp_ip_CI_unitstride_sbrr_R2C_dirReg
		.amdhsa_group_segment_fixed_size 0
		.amdhsa_private_segment_fixed_size 0
		.amdhsa_kernarg_size 88
		.amdhsa_user_sgpr_count 6
		.amdhsa_user_sgpr_private_segment_buffer 1
		.amdhsa_user_sgpr_dispatch_ptr 0
		.amdhsa_user_sgpr_queue_ptr 0
		.amdhsa_user_sgpr_kernarg_segment_ptr 1
		.amdhsa_user_sgpr_dispatch_id 0
		.amdhsa_user_sgpr_flat_scratch_init 0
		.amdhsa_user_sgpr_private_segment_size 0
		.amdhsa_wavefront_size32 1
		.amdhsa_uses_dynamic_stack 0
		.amdhsa_system_sgpr_private_segment_wavefront_offset 0
		.amdhsa_system_sgpr_workgroup_id_x 1
		.amdhsa_system_sgpr_workgroup_id_y 0
		.amdhsa_system_sgpr_workgroup_id_z 0
		.amdhsa_system_sgpr_workgroup_info 0
		.amdhsa_system_vgpr_workitem_id 0
		.amdhsa_next_free_vgpr 143
		.amdhsa_next_free_sgpr 32
		.amdhsa_reserve_vcc 1
		.amdhsa_reserve_flat_scratch 0
		.amdhsa_float_round_mode_32 0
		.amdhsa_float_round_mode_16_64 0
		.amdhsa_float_denorm_mode_32 3
		.amdhsa_float_denorm_mode_16_64 3
		.amdhsa_dx10_clamp 1
		.amdhsa_ieee_mode 1
		.amdhsa_fp16_overflow 0
		.amdhsa_workgroup_processor_mode 1
		.amdhsa_memory_ordered 1
		.amdhsa_forward_progress 0
		.amdhsa_shared_vgpr_count 0
		.amdhsa_exception_fp_ieee_invalid_op 0
		.amdhsa_exception_fp_denorm_src 0
		.amdhsa_exception_fp_ieee_div_zero 0
		.amdhsa_exception_fp_ieee_overflow 0
		.amdhsa_exception_fp_ieee_underflow 0
		.amdhsa_exception_fp_ieee_inexact 0
		.amdhsa_exception_int_div_zero 0
	.end_amdhsa_kernel
	.text
.Lfunc_end0:
	.size	fft_rtc_back_len440_factors_11_8_5_wgs_55_tpt_55_dp_ip_CI_unitstride_sbrr_R2C_dirReg, .Lfunc_end0-fft_rtc_back_len440_factors_11_8_5_wgs_55_tpt_55_dp_ip_CI_unitstride_sbrr_R2C_dirReg
                                        ; -- End function
	.section	.AMDGPU.csdata,"",@progbits
; Kernel info:
; codeLenInByte = 8252
; NumSgprs: 34
; NumVgprs: 143
; ScratchSize: 0
; MemoryBound: 0
; FloatMode: 240
; IeeeMode: 1
; LDSByteSize: 0 bytes/workgroup (compile time only)
; SGPRBlocks: 4
; VGPRBlocks: 17
; NumSGPRsForWavesPerEU: 34
; NumVGPRsForWavesPerEU: 143
; Occupancy: 7
; WaveLimiterHint : 1
; COMPUTE_PGM_RSRC2:SCRATCH_EN: 0
; COMPUTE_PGM_RSRC2:USER_SGPR: 6
; COMPUTE_PGM_RSRC2:TRAP_HANDLER: 0
; COMPUTE_PGM_RSRC2:TGID_X_EN: 1
; COMPUTE_PGM_RSRC2:TGID_Y_EN: 0
; COMPUTE_PGM_RSRC2:TGID_Z_EN: 0
; COMPUTE_PGM_RSRC2:TIDIG_COMP_CNT: 0
	.text
	.p2alignl 6, 3214868480
	.fill 48, 4, 3214868480
	.type	__hip_cuid_d909000f9a188ed3,@object ; @__hip_cuid_d909000f9a188ed3
	.section	.bss,"aw",@nobits
	.globl	__hip_cuid_d909000f9a188ed3
__hip_cuid_d909000f9a188ed3:
	.byte	0                               ; 0x0
	.size	__hip_cuid_d909000f9a188ed3, 1

	.ident	"AMD clang version 19.0.0git (https://github.com/RadeonOpenCompute/llvm-project roc-6.4.0 25133 c7fe45cf4b819c5991fe208aaa96edf142730f1d)"
	.section	".note.GNU-stack","",@progbits
	.addrsig
	.addrsig_sym __hip_cuid_d909000f9a188ed3
	.amdgpu_metadata
---
amdhsa.kernels:
  - .args:
      - .actual_access:  read_only
        .address_space:  global
        .offset:         0
        .size:           8
        .value_kind:     global_buffer
      - .offset:         8
        .size:           8
        .value_kind:     by_value
      - .actual_access:  read_only
        .address_space:  global
        .offset:         16
        .size:           8
        .value_kind:     global_buffer
      - .actual_access:  read_only
        .address_space:  global
        .offset:         24
        .size:           8
        .value_kind:     global_buffer
      - .offset:         32
        .size:           8
        .value_kind:     by_value
      - .actual_access:  read_only
        .address_space:  global
        .offset:         40
        .size:           8
        .value_kind:     global_buffer
      - .actual_access:  read_only
        .address_space:  global
        .offset:         48
        .size:           8
        .value_kind:     global_buffer
      - .offset:         56
        .size:           4
        .value_kind:     by_value
      - .actual_access:  read_only
        .address_space:  global
        .offset:         64
        .size:           8
        .value_kind:     global_buffer
      - .actual_access:  read_only
        .address_space:  global
        .offset:         72
        .size:           8
        .value_kind:     global_buffer
      - .address_space:  global
        .offset:         80
        .size:           8
        .value_kind:     global_buffer
    .group_segment_fixed_size: 0
    .kernarg_segment_align: 8
    .kernarg_segment_size: 88
    .language:       OpenCL C
    .language_version:
      - 2
      - 0
    .max_flat_workgroup_size: 55
    .name:           fft_rtc_back_len440_factors_11_8_5_wgs_55_tpt_55_dp_ip_CI_unitstride_sbrr_R2C_dirReg
    .private_segment_fixed_size: 0
    .sgpr_count:     34
    .sgpr_spill_count: 0
    .symbol:         fft_rtc_back_len440_factors_11_8_5_wgs_55_tpt_55_dp_ip_CI_unitstride_sbrr_R2C_dirReg.kd
    .uniform_work_group_size: 1
    .uses_dynamic_stack: false
    .vgpr_count:     143
    .vgpr_spill_count: 0
    .wavefront_size: 32
    .workgroup_processor_mode: 1
amdhsa.target:   amdgcn-amd-amdhsa--gfx1030
amdhsa.version:
  - 1
  - 2
...

	.end_amdgpu_metadata
